;; amdgpu-corpus repo=ROCm/hip-tests kind=compiled arch=gfx1250 opt=O3
	.amdgcn_target "amdgcn-amd-amdhsa--gfx1250"
	.amdhsa_code_object_version 6
	.section	.text._ZL19testMakeComplexFuncPfS_P15HIP_vector_typeIfLj2EE,"axG",@progbits,_ZL19testMakeComplexFuncPfS_P15HIP_vector_typeIfLj2EE,comdat
	.globl	_ZL19testMakeComplexFuncPfS_P15HIP_vector_typeIfLj2EE ; -- Begin function _ZL19testMakeComplexFuncPfS_P15HIP_vector_typeIfLj2EE
	.p2align	8
	.type	_ZL19testMakeComplexFuncPfS_P15HIP_vector_typeIfLj2EE,@function
_ZL19testMakeComplexFuncPfS_P15HIP_vector_typeIfLj2EE: ; @_ZL19testMakeComplexFuncPfS_P15HIP_vector_typeIfLj2EE
; %bb.0:
	s_clause 0x1
	s_load_b32 s2, s[0:1], 0x24
	s_load_b128 s[4:7], s[0:1], 0x0
	s_bfe_u32 s3, ttmp6, 0x4000c
	s_and_b32 s8, ttmp6, 15
	s_add_co_i32 s3, s3, 1
	s_getreg_b32 s9, hwreg(HW_REG_IB_STS2, 6, 4)
	s_mul_i32 s3, ttmp9, s3
	s_wait_xcnt 0x0
	s_load_b64 s[0:1], s[0:1], 0x10
	s_add_co_i32 s8, s8, s3
	s_wait_kmcnt 0x0
	s_and_b32 s2, s2, 0xffff
	s_cmp_eq_u32 s9, 0
	s_cselect_b32 s3, ttmp9, s8
	s_delay_alu instid0(SALU_CYCLE_1)
	v_mad_u32 v2, s3, s2, v0
	s_clause 0x1
	global_load_b32 v0, v2, s[4:5] scale_offset
	global_load_b32 v1, v2, s[6:7] scale_offset
	s_wait_loadcnt 0x0
	global_store_b64 v2, v[0:1], s[0:1] scale_offset
	s_endpgm
	.section	.rodata,"a",@progbits
	.p2align	6, 0x0
	.amdhsa_kernel _ZL19testMakeComplexFuncPfS_P15HIP_vector_typeIfLj2EE
		.amdhsa_group_segment_fixed_size 0
		.amdhsa_private_segment_fixed_size 0
		.amdhsa_kernarg_size 280
		.amdhsa_user_sgpr_count 2
		.amdhsa_user_sgpr_dispatch_ptr 0
		.amdhsa_user_sgpr_queue_ptr 0
		.amdhsa_user_sgpr_kernarg_segment_ptr 1
		.amdhsa_user_sgpr_dispatch_id 0
		.amdhsa_user_sgpr_kernarg_preload_length 0
		.amdhsa_user_sgpr_kernarg_preload_offset 0
		.amdhsa_user_sgpr_private_segment_size 0
		.amdhsa_wavefront_size32 1
		.amdhsa_uses_dynamic_stack 0
		.amdhsa_enable_private_segment 0
		.amdhsa_system_sgpr_workgroup_id_x 1
		.amdhsa_system_sgpr_workgroup_id_y 0
		.amdhsa_system_sgpr_workgroup_id_z 0
		.amdhsa_system_sgpr_workgroup_info 0
		.amdhsa_system_vgpr_workitem_id 0
		.amdhsa_next_free_vgpr 3
		.amdhsa_next_free_sgpr 10
		.amdhsa_named_barrier_count 0
		.amdhsa_reserve_vcc 0
		.amdhsa_float_round_mode_32 0
		.amdhsa_float_round_mode_16_64 0
		.amdhsa_float_denorm_mode_32 3
		.amdhsa_float_denorm_mode_16_64 3
		.amdhsa_fp16_overflow 0
		.amdhsa_memory_ordered 1
		.amdhsa_forward_progress 1
		.amdhsa_inst_pref_size 2
		.amdhsa_round_robin_scheduling 0
		.amdhsa_exception_fp_ieee_invalid_op 0
		.amdhsa_exception_fp_denorm_src 0
		.amdhsa_exception_fp_ieee_div_zero 0
		.amdhsa_exception_fp_ieee_overflow 0
		.amdhsa_exception_fp_ieee_underflow 0
		.amdhsa_exception_fp_ieee_inexact 0
		.amdhsa_exception_int_div_zero 0
	.end_amdhsa_kernel
	.section	.text._ZL19testMakeComplexFuncPfS_P15HIP_vector_typeIfLj2EE,"axG",@progbits,_ZL19testMakeComplexFuncPfS_P15HIP_vector_typeIfLj2EE,comdat
.Lfunc_end0:
	.size	_ZL19testMakeComplexFuncPfS_P15HIP_vector_typeIfLj2EE, .Lfunc_end0-_ZL19testMakeComplexFuncPfS_P15HIP_vector_typeIfLj2EE
                                        ; -- End function
	.set _ZL19testMakeComplexFuncPfS_P15HIP_vector_typeIfLj2EE.num_vgpr, 3
	.set _ZL19testMakeComplexFuncPfS_P15HIP_vector_typeIfLj2EE.num_agpr, 0
	.set _ZL19testMakeComplexFuncPfS_P15HIP_vector_typeIfLj2EE.numbered_sgpr, 10
	.set _ZL19testMakeComplexFuncPfS_P15HIP_vector_typeIfLj2EE.num_named_barrier, 0
	.set _ZL19testMakeComplexFuncPfS_P15HIP_vector_typeIfLj2EE.private_seg_size, 0
	.set _ZL19testMakeComplexFuncPfS_P15HIP_vector_typeIfLj2EE.uses_vcc, 0
	.set _ZL19testMakeComplexFuncPfS_P15HIP_vector_typeIfLj2EE.uses_flat_scratch, 0
	.set _ZL19testMakeComplexFuncPfS_P15HIP_vector_typeIfLj2EE.has_dyn_sized_stack, 0
	.set _ZL19testMakeComplexFuncPfS_P15HIP_vector_typeIfLj2EE.has_recursion, 0
	.set _ZL19testMakeComplexFuncPfS_P15HIP_vector_typeIfLj2EE.has_indirect_call, 0
	.section	.AMDGPU.csdata,"",@progbits
; Kernel info:
; codeLenInByte = 140
; TotalNumSgprs: 10
; NumVgprs: 3
; ScratchSize: 0
; MemoryBound: 0
; FloatMode: 240
; IeeeMode: 1
; LDSByteSize: 0 bytes/workgroup (compile time only)
; SGPRBlocks: 0
; VGPRBlocks: 0
; NumSGPRsForWavesPerEU: 10
; NumVGPRsForWavesPerEU: 3
; NamedBarCnt: 0
; Occupancy: 16
; WaveLimiterHint : 0
; COMPUTE_PGM_RSRC2:SCRATCH_EN: 0
; COMPUTE_PGM_RSRC2:USER_SGPR: 2
; COMPUTE_PGM_RSRC2:TRAP_HANDLER: 0
; COMPUTE_PGM_RSRC2:TGID_X_EN: 1
; COMPUTE_PGM_RSRC2:TGID_Y_EN: 0
; COMPUTE_PGM_RSRC2:TGID_Z_EN: 0
; COMPUTE_PGM_RSRC2:TIDIG_COMP_CNT: 0
	.section	.text._ZL19testMakeComplexFuncPdS_P15HIP_vector_typeIdLj2EE,"axG",@progbits,_ZL19testMakeComplexFuncPdS_P15HIP_vector_typeIdLj2EE,comdat
	.globl	_ZL19testMakeComplexFuncPdS_P15HIP_vector_typeIdLj2EE ; -- Begin function _ZL19testMakeComplexFuncPdS_P15HIP_vector_typeIdLj2EE
	.p2align	8
	.type	_ZL19testMakeComplexFuncPdS_P15HIP_vector_typeIdLj2EE,@function
_ZL19testMakeComplexFuncPdS_P15HIP_vector_typeIdLj2EE: ; @_ZL19testMakeComplexFuncPdS_P15HIP_vector_typeIdLj2EE
; %bb.0:
	s_clause 0x1
	s_load_b32 s2, s[0:1], 0x24
	s_load_b128 s[4:7], s[0:1], 0x0
	s_bfe_u32 s3, ttmp6, 0x4000c
	s_and_b32 s8, ttmp6, 15
	s_add_co_i32 s3, s3, 1
	s_getreg_b32 s9, hwreg(HW_REG_IB_STS2, 6, 4)
	s_mul_i32 s3, ttmp9, s3
	s_wait_xcnt 0x0
	s_load_b64 s[0:1], s[0:1], 0x10
	s_add_co_i32 s8, s8, s3
	s_wait_kmcnt 0x0
	s_and_b32 s2, s2, 0xffff
	s_cmp_eq_u32 s9, 0
	s_cselect_b32 s3, ttmp9, s8
	s_delay_alu instid0(SALU_CYCLE_1)
	v_mad_u32 v4, s3, s2, v0
	s_clause 0x1
	global_load_b64 v[0:1], v4, s[4:5] scale_offset
	global_load_b64 v[2:3], v4, s[6:7] scale_offset
	s_wait_loadcnt 0x0
	global_store_b128 v4, v[0:3], s[0:1] scale_offset
	s_endpgm
	.section	.rodata,"a",@progbits
	.p2align	6, 0x0
	.amdhsa_kernel _ZL19testMakeComplexFuncPdS_P15HIP_vector_typeIdLj2EE
		.amdhsa_group_segment_fixed_size 0
		.amdhsa_private_segment_fixed_size 0
		.amdhsa_kernarg_size 280
		.amdhsa_user_sgpr_count 2
		.amdhsa_user_sgpr_dispatch_ptr 0
		.amdhsa_user_sgpr_queue_ptr 0
		.amdhsa_user_sgpr_kernarg_segment_ptr 1
		.amdhsa_user_sgpr_dispatch_id 0
		.amdhsa_user_sgpr_kernarg_preload_length 0
		.amdhsa_user_sgpr_kernarg_preload_offset 0
		.amdhsa_user_sgpr_private_segment_size 0
		.amdhsa_wavefront_size32 1
		.amdhsa_uses_dynamic_stack 0
		.amdhsa_enable_private_segment 0
		.amdhsa_system_sgpr_workgroup_id_x 1
		.amdhsa_system_sgpr_workgroup_id_y 0
		.amdhsa_system_sgpr_workgroup_id_z 0
		.amdhsa_system_sgpr_workgroup_info 0
		.amdhsa_system_vgpr_workitem_id 0
		.amdhsa_next_free_vgpr 5
		.amdhsa_next_free_sgpr 10
		.amdhsa_named_barrier_count 0
		.amdhsa_reserve_vcc 0
		.amdhsa_float_round_mode_32 0
		.amdhsa_float_round_mode_16_64 0
		.amdhsa_float_denorm_mode_32 3
		.amdhsa_float_denorm_mode_16_64 3
		.amdhsa_fp16_overflow 0
		.amdhsa_memory_ordered 1
		.amdhsa_forward_progress 1
		.amdhsa_inst_pref_size 2
		.amdhsa_round_robin_scheduling 0
		.amdhsa_exception_fp_ieee_invalid_op 0
		.amdhsa_exception_fp_denorm_src 0
		.amdhsa_exception_fp_ieee_div_zero 0
		.amdhsa_exception_fp_ieee_overflow 0
		.amdhsa_exception_fp_ieee_underflow 0
		.amdhsa_exception_fp_ieee_inexact 0
		.amdhsa_exception_int_div_zero 0
	.end_amdhsa_kernel
	.section	.text._ZL19testMakeComplexFuncPdS_P15HIP_vector_typeIdLj2EE,"axG",@progbits,_ZL19testMakeComplexFuncPdS_P15HIP_vector_typeIdLj2EE,comdat
.Lfunc_end1:
	.size	_ZL19testMakeComplexFuncPdS_P15HIP_vector_typeIdLj2EE, .Lfunc_end1-_ZL19testMakeComplexFuncPdS_P15HIP_vector_typeIdLj2EE
                                        ; -- End function
	.set _ZL19testMakeComplexFuncPdS_P15HIP_vector_typeIdLj2EE.num_vgpr, 5
	.set _ZL19testMakeComplexFuncPdS_P15HIP_vector_typeIdLj2EE.num_agpr, 0
	.set _ZL19testMakeComplexFuncPdS_P15HIP_vector_typeIdLj2EE.numbered_sgpr, 10
	.set _ZL19testMakeComplexFuncPdS_P15HIP_vector_typeIdLj2EE.num_named_barrier, 0
	.set _ZL19testMakeComplexFuncPdS_P15HIP_vector_typeIdLj2EE.private_seg_size, 0
	.set _ZL19testMakeComplexFuncPdS_P15HIP_vector_typeIdLj2EE.uses_vcc, 0
	.set _ZL19testMakeComplexFuncPdS_P15HIP_vector_typeIdLj2EE.uses_flat_scratch, 0
	.set _ZL19testMakeComplexFuncPdS_P15HIP_vector_typeIdLj2EE.has_dyn_sized_stack, 0
	.set _ZL19testMakeComplexFuncPdS_P15HIP_vector_typeIdLj2EE.has_recursion, 0
	.set _ZL19testMakeComplexFuncPdS_P15HIP_vector_typeIdLj2EE.has_indirect_call, 0
	.section	.AMDGPU.csdata,"",@progbits
; Kernel info:
; codeLenInByte = 140
; TotalNumSgprs: 10
; NumVgprs: 5
; ScratchSize: 0
; MemoryBound: 0
; FloatMode: 240
; IeeeMode: 1
; LDSByteSize: 0 bytes/workgroup (compile time only)
; SGPRBlocks: 0
; VGPRBlocks: 0
; NumSGPRsForWavesPerEU: 10
; NumVGPRsForWavesPerEU: 5
; NamedBarCnt: 0
; Occupancy: 16
; WaveLimiterHint : 0
; COMPUTE_PGM_RSRC2:SCRATCH_EN: 0
; COMPUTE_PGM_RSRC2:USER_SGPR: 2
; COMPUTE_PGM_RSRC2:TRAP_HANDLER: 0
; COMPUTE_PGM_RSRC2:TGID_X_EN: 1
; COMPUTE_PGM_RSRC2:TGID_Y_EN: 0
; COMPUTE_PGM_RSRC2:TGID_Z_EN: 0
; COMPUTE_PGM_RSRC2:TIDIG_COMP_CNT: 0
	.section	.text._ZL20testComplexMathFunc1P15HIP_vector_typeIfLj2EES1_S1_15ComplexFuncType,"axG",@progbits,_ZL20testComplexMathFunc1P15HIP_vector_typeIfLj2EES1_S1_15ComplexFuncType,comdat
	.globl	_ZL20testComplexMathFunc1P15HIP_vector_typeIfLj2EES1_S1_15ComplexFuncType ; -- Begin function _ZL20testComplexMathFunc1P15HIP_vector_typeIfLj2EES1_S1_15ComplexFuncType
	.p2align	8
	.type	_ZL20testComplexMathFunc1P15HIP_vector_typeIfLj2EES1_S1_15ComplexFuncType,@function
_ZL20testComplexMathFunc1P15HIP_vector_typeIfLj2EES1_S1_15ComplexFuncType: ; @_ZL20testComplexMathFunc1P15HIP_vector_typeIfLj2EES1_S1_15ComplexFuncType
; %bb.0:
	s_clause 0x2
	s_load_b32 s2, s[0:1], 0x2c
	s_load_b128 s[4:7], s[0:1], 0x0
	s_load_b96 s[8:10], s[0:1], 0x10
	s_wait_xcnt 0x0
	s_bfe_u32 s0, ttmp6, 0x4000c
	s_and_b32 s1, ttmp6, 15
	s_add_co_i32 s0, s0, 1
	s_getreg_b32 s3, hwreg(HW_REG_IB_STS2, 6, 4)
	s_mul_i32 s0, ttmp9, s0
	s_delay_alu instid0(SALU_CYCLE_1)
	s_add_co_i32 s1, s1, s0
	s_wait_kmcnt 0x0
	s_and_b32 s2, s2, 0xffff
	s_cmp_eq_u32 s3, 0
	s_cselect_b32 s0, ttmp9, s1
	s_cmp_lt_i32 s10, 2
	v_mad_u32 v0, s0, s2, v0
	s_mov_b32 s0, 0
	s_cbranch_scc1 .LBB2_5
; %bb.1:
	s_cmp_gt_i32 s10, 2
	s_cbranch_scc0 .LBB2_6
; %bb.2:
	s_cmp_gt_i32 s10, 3
	s_cbranch_scc0 .LBB2_7
; %bb.3:
	s_cmp_eq_u32 s10, 4
	s_mov_b32 s1, 0
	s_cbranch_scc0 .LBB2_8
; %bb.4:
	global_load_b64 v[4:5], v0, s[4:5] scale_offset
	v_ashrrev_i32_e32 v1, 31, v0
	s_mov_b32 s0, -1
	s_delay_alu instid0(VALU_DEP_1)
	v_lshl_add_u64 v[2:3], v[0:1], 3, s[8:9]
	s_wait_loadcnt 0x0
	v_xor_b32_e32 v1, 0x80000000, v5
	global_store_b32 v[2:3], v4, off
	s_and_b32 vcc_lo, exec_lo, s1
	s_cbranch_vccnz .LBB2_9
	s_branch .LBB2_10
.LBB2_5:
                                        ; implicit-def: $vgpr1
                                        ; implicit-def: $vgpr2_vgpr3
	s_cbranch_execnz .LBB2_13
	s_branch .LBB2_18
.LBB2_6:
                                        ; implicit-def: $vgpr1
                                        ; implicit-def: $vgpr2_vgpr3
	s_cbranch_execnz .LBB2_11
	s_branch .LBB2_12
.LBB2_7:
	s_mov_b32 s1, -1
.LBB2_8:
                                        ; implicit-def: $vgpr1
                                        ; implicit-def: $vgpr2_vgpr3
	s_delay_alu instid0(SALU_CYCLE_1)
	s_and_b32 vcc_lo, exec_lo, s1
	s_cbranch_vccz .LBB2_10
.LBB2_9:
	s_clause 0x1
	global_load_b64 v[2:3], v0, s[4:5] scale_offset
	global_load_b64 v[4:5], v0, s[6:7] scale_offset
	s_wait_loadcnt 0x0
	v_dual_mov_b32 v8, v3 :: v_dual_mov_b32 v9, v5
	v_pk_mul_f32 v[6:7], v[2:3], v[4:5]
	v_mov_b32_e32 v3, v4
	s_delay_alu instid0(VALU_DEP_3) | instskip(NEXT) | instid1(VALU_DEP_2)
	v_pk_mul_f32 v[8:9], v[4:5], v[8:9]
	v_pk_mul_f32 v[2:3], v[4:5], v[2:3] op_sel:[1,0] op_sel_hi:[0,1]
	s_delay_alu instid0(VALU_DEP_4) | instskip(NEXT) | instid1(VALU_DEP_2)
	v_add_f32_e32 v4, v6, v7
	v_dual_add_f32 v5, v9, v3 :: v_dual_sub_f32 v6, v8, v2
	s_delay_alu instid0(VALU_DEP_1) | instskip(NEXT) | instid1(VALU_DEP_2)
	v_div_scale_f32 v1, null, v5, v5, v4
	v_div_scale_f32 v2, null, v5, v5, v6
	v_div_scale_f32 v10, vcc_lo, v4, v5, v4
	s_delay_alu instid0(VALU_DEP_3) | instskip(NEXT) | instid1(VALU_DEP_2)
	v_rcp_f32_e32 v3, v1
	v_rcp_f32_e32 v7, v2
	s_delay_alu instid0(TRANS32_DEP_2) | instskip(NEXT) | instid1(TRANS32_DEP_1)
	v_fma_f32 v8, -v1, v3, 1.0
	v_fma_f32 v9, -v2, v7, 1.0
	s_delay_alu instid0(VALU_DEP_2) | instskip(NEXT) | instid1(VALU_DEP_2)
	v_fmac_f32_e32 v3, v8, v3
	v_fmac_f32_e32 v7, v9, v7
	v_div_scale_f32 v8, s0, v6, v5, v6
	s_delay_alu instid0(VALU_DEP_3) | instskip(NEXT) | instid1(VALU_DEP_1)
	v_mul_f32_e32 v9, v10, v3
	v_fma_f32 v12, -v1, v9, v10
	s_delay_alu instid0(VALU_DEP_1) | instskip(NEXT) | instid1(VALU_DEP_1)
	v_fmac_f32_e32 v9, v12, v3
	v_dual_fma_f32 v10, -v1, v9, v10 :: v_dual_ashrrev_i32 v1, 31, v0
	v_mul_f32_e32 v11, v8, v7
	s_delay_alu instid0(VALU_DEP_2) | instskip(SKIP_1) | instid1(VALU_DEP_2)
	v_div_fmas_f32 v3, v10, v3, v9
	s_mov_b32 vcc_lo, s0
	v_fma_f32 v13, -v2, v11, v8
	s_mov_b32 s0, -1
	s_delay_alu instid0(VALU_DEP_2) | instskip(NEXT) | instid1(VALU_DEP_2)
	v_div_fixup_f32 v4, v3, v5, v4
	v_fmac_f32_e32 v11, v13, v7
	s_delay_alu instid0(VALU_DEP_1) | instskip(NEXT) | instid1(VALU_DEP_1)
	v_fma_f32 v2, -v2, v11, v8
	v_div_fmas_f32 v7, v2, v7, v11
	v_lshl_add_u64 v[2:3], v[0:1], 3, s[8:9]
	s_delay_alu instid0(VALU_DEP_2)
	v_div_fixup_f32 v1, v7, v5, v6
	global_store_b32 v[2:3], v4, off
.LBB2_10:
	s_branch .LBB2_12
.LBB2_11:
	s_clause 0x1
	global_load_b64 v[2:3], v0, s[4:5] scale_offset
	global_load_b64 v[4:5], v0, s[6:7] scale_offset
	s_mov_b32 s0, -1
	s_wait_loadcnt 0x0
	v_pk_mul_f32 v[6:7], v[2:3], v[4:5]
	v_ashrrev_i32_e32 v1, 31, v0
	v_pk_mul_f32 v[4:5], v[2:3], v[4:5] op_sel:[1,0] op_sel_hi:[0,1]
	s_delay_alu instid0(VALU_DEP_3) | instskip(NEXT) | instid1(VALU_DEP_3)
	v_sub_f32_e32 v6, v6, v7
	v_lshl_add_u64 v[2:3], v[0:1], 3, s[8:9]
	s_delay_alu instid0(VALU_DEP_3)
	v_add_f32_e32 v1, v4, v5
	global_store_b32 v[2:3], v6, off
.LBB2_12:
	s_branch .LBB2_18
.LBB2_13:
	s_cmp_gt_i32 s10, 0
	s_mov_b32 s1, 0
	s_cbranch_scc0 .LBB2_15
; %bb.14:
	s_clause 0x1
	global_load_b64 v[4:5], v0, s[4:5] scale_offset
	global_load_b64 v[6:7], v0, s[6:7] scale_offset
	v_ashrrev_i32_e32 v1, 31, v0
	s_mov_b32 s0, -1
	s_wait_loadcnt 0x0
	v_sub_f32_e32 v4, v4, v6
	s_delay_alu instid0(VALU_DEP_2)
	v_lshl_add_u64 v[2:3], v[0:1], 3, s[8:9]
	v_sub_f32_e32 v1, v5, v7
	global_store_b32 v[2:3], v4, off
	s_and_not1_b32 vcc_lo, exec_lo, s1
	s_cbranch_vccz .LBB2_16
	s_branch .LBB2_18
.LBB2_15:
                                        ; implicit-def: $vgpr1
                                        ; implicit-def: $vgpr2_vgpr3
.LBB2_16:
	s_cmp_eq_u32 s10, 0
	s_cbranch_scc1 .LBB2_21
; %bb.17:
                                        ; implicit-def: $vgpr1
                                        ; implicit-def: $vgpr2_vgpr3
.LBB2_18:
	s_and_b32 vcc_lo, exec_lo, s0
	s_cbranch_vccz .LBB2_20
.LBB2_19:
	global_store_b32 v[2:3], v1, off offset:4
.LBB2_20:
	s_endpgm
.LBB2_21:
	s_clause 0x1
	global_load_b64 v[4:5], v0, s[4:5] scale_offset
	global_load_b64 v[6:7], v0, s[6:7] scale_offset
	v_ashrrev_i32_e32 v1, 31, v0
	s_wait_loadcnt 0x0
	v_add_f32_e32 v4, v4, v6
	s_delay_alu instid0(VALU_DEP_2)
	v_lshl_add_u64 v[2:3], v[0:1], 3, s[8:9]
	v_add_f32_e32 v1, v5, v7
	global_store_b32 v[2:3], v4, off
	s_cbranch_execnz .LBB2_19
	s_branch .LBB2_20
	.section	.rodata,"a",@progbits
	.p2align	6, 0x0
	.amdhsa_kernel _ZL20testComplexMathFunc1P15HIP_vector_typeIfLj2EES1_S1_15ComplexFuncType
		.amdhsa_group_segment_fixed_size 0
		.amdhsa_private_segment_fixed_size 0
		.amdhsa_kernarg_size 288
		.amdhsa_user_sgpr_count 2
		.amdhsa_user_sgpr_dispatch_ptr 0
		.amdhsa_user_sgpr_queue_ptr 0
		.amdhsa_user_sgpr_kernarg_segment_ptr 1
		.amdhsa_user_sgpr_dispatch_id 0
		.amdhsa_user_sgpr_kernarg_preload_length 0
		.amdhsa_user_sgpr_kernarg_preload_offset 0
		.amdhsa_user_sgpr_private_segment_size 0
		.amdhsa_wavefront_size32 1
		.amdhsa_uses_dynamic_stack 0
		.amdhsa_enable_private_segment 0
		.amdhsa_system_sgpr_workgroup_id_x 1
		.amdhsa_system_sgpr_workgroup_id_y 0
		.amdhsa_system_sgpr_workgroup_id_z 0
		.amdhsa_system_sgpr_workgroup_info 0
		.amdhsa_system_vgpr_workitem_id 0
		.amdhsa_next_free_vgpr 14
		.amdhsa_next_free_sgpr 11
		.amdhsa_named_barrier_count 0
		.amdhsa_reserve_vcc 1
		.amdhsa_float_round_mode_32 0
		.amdhsa_float_round_mode_16_64 0
		.amdhsa_float_denorm_mode_32 3
		.amdhsa_float_denorm_mode_16_64 3
		.amdhsa_fp16_overflow 0
		.amdhsa_memory_ordered 1
		.amdhsa_forward_progress 1
		.amdhsa_inst_pref_size 7
		.amdhsa_round_robin_scheduling 0
		.amdhsa_exception_fp_ieee_invalid_op 0
		.amdhsa_exception_fp_denorm_src 0
		.amdhsa_exception_fp_ieee_div_zero 0
		.amdhsa_exception_fp_ieee_overflow 0
		.amdhsa_exception_fp_ieee_underflow 0
		.amdhsa_exception_fp_ieee_inexact 0
		.amdhsa_exception_int_div_zero 0
	.end_amdhsa_kernel
	.section	.text._ZL20testComplexMathFunc1P15HIP_vector_typeIfLj2EES1_S1_15ComplexFuncType,"axG",@progbits,_ZL20testComplexMathFunc1P15HIP_vector_typeIfLj2EES1_S1_15ComplexFuncType,comdat
.Lfunc_end2:
	.size	_ZL20testComplexMathFunc1P15HIP_vector_typeIfLj2EES1_S1_15ComplexFuncType, .Lfunc_end2-_ZL20testComplexMathFunc1P15HIP_vector_typeIfLj2EES1_S1_15ComplexFuncType
                                        ; -- End function
	.set _ZL20testComplexMathFunc1P15HIP_vector_typeIfLj2EES1_S1_15ComplexFuncType.num_vgpr, 14
	.set _ZL20testComplexMathFunc1P15HIP_vector_typeIfLj2EES1_S1_15ComplexFuncType.num_agpr, 0
	.set _ZL20testComplexMathFunc1P15HIP_vector_typeIfLj2EES1_S1_15ComplexFuncType.numbered_sgpr, 11
	.set _ZL20testComplexMathFunc1P15HIP_vector_typeIfLj2EES1_S1_15ComplexFuncType.num_named_barrier, 0
	.set _ZL20testComplexMathFunc1P15HIP_vector_typeIfLj2EES1_S1_15ComplexFuncType.private_seg_size, 0
	.set _ZL20testComplexMathFunc1P15HIP_vector_typeIfLj2EES1_S1_15ComplexFuncType.uses_vcc, 1
	.set _ZL20testComplexMathFunc1P15HIP_vector_typeIfLj2EES1_S1_15ComplexFuncType.uses_flat_scratch, 0
	.set _ZL20testComplexMathFunc1P15HIP_vector_typeIfLj2EES1_S1_15ComplexFuncType.has_dyn_sized_stack, 0
	.set _ZL20testComplexMathFunc1P15HIP_vector_typeIfLj2EES1_S1_15ComplexFuncType.has_recursion, 0
	.set _ZL20testComplexMathFunc1P15HIP_vector_typeIfLj2EES1_S1_15ComplexFuncType.has_indirect_call, 0
	.section	.AMDGPU.csdata,"",@progbits
; Kernel info:
; codeLenInByte = 840
; TotalNumSgprs: 13
; NumVgprs: 14
; ScratchSize: 0
; MemoryBound: 0
; FloatMode: 240
; IeeeMode: 1
; LDSByteSize: 0 bytes/workgroup (compile time only)
; SGPRBlocks: 0
; VGPRBlocks: 0
; NumSGPRsForWavesPerEU: 13
; NumVGPRsForWavesPerEU: 14
; NamedBarCnt: 0
; Occupancy: 16
; WaveLimiterHint : 0
; COMPUTE_PGM_RSRC2:SCRATCH_EN: 0
; COMPUTE_PGM_RSRC2:USER_SGPR: 2
; COMPUTE_PGM_RSRC2:TRAP_HANDLER: 0
; COMPUTE_PGM_RSRC2:TGID_X_EN: 1
; COMPUTE_PGM_RSRC2:TGID_Y_EN: 0
; COMPUTE_PGM_RSRC2:TGID_Z_EN: 0
; COMPUTE_PGM_RSRC2:TIDIG_COMP_CNT: 0
	.section	.text._ZL20testComplexMathFunc1P15HIP_vector_typeIdLj2EES1_S1_15ComplexFuncType,"axG",@progbits,_ZL20testComplexMathFunc1P15HIP_vector_typeIdLj2EES1_S1_15ComplexFuncType,comdat
	.globl	_ZL20testComplexMathFunc1P15HIP_vector_typeIdLj2EES1_S1_15ComplexFuncType ; -- Begin function _ZL20testComplexMathFunc1P15HIP_vector_typeIdLj2EES1_S1_15ComplexFuncType
	.p2align	8
	.type	_ZL20testComplexMathFunc1P15HIP_vector_typeIdLj2EES1_S1_15ComplexFuncType,@function
_ZL20testComplexMathFunc1P15HIP_vector_typeIdLj2EES1_S1_15ComplexFuncType: ; @_ZL20testComplexMathFunc1P15HIP_vector_typeIdLj2EES1_S1_15ComplexFuncType
; %bb.0:
	s_clause 0x2
	s_load_b32 s2, s[0:1], 0x2c
	s_load_b128 s[4:7], s[0:1], 0x0
	s_load_b32 s3, s[0:1], 0x18
	s_bfe_u32 s8, ttmp6, 0x4000c
	s_and_b32 s9, ttmp6, 15
	s_add_co_i32 s8, s8, 1
	s_getreg_b32 s10, hwreg(HW_REG_IB_STS2, 6, 4)
	s_mul_i32 s8, ttmp9, s8
	s_delay_alu instid0(SALU_CYCLE_1)
	s_add_co_i32 s9, s9, s8
	s_wait_kmcnt 0x0
	s_and_b32 s2, s2, 0xffff
	s_cmp_eq_u32 s10, 0
	s_cselect_b32 s8, ttmp9, s9
	s_cmp_lt_i32 s3, 2
	v_mad_u32 v4, s8, s2, v0
	s_mov_b32 s2, 0
	s_cbranch_scc1 .LBB3_5
; %bb.1:
	s_cmp_gt_i32 s3, 2
	s_cbranch_scc0 .LBB3_6
; %bb.2:
	s_cmp_gt_i32 s3, 3
	s_cbranch_scc0 .LBB3_7
; %bb.3:
	s_cmp_eq_u32 s3, 4
	s_mov_b32 s8, 0
	s_cbranch_scc0 .LBB3_8
; %bb.4:
	global_load_b128 v[0:3], v4, s[4:5] scale_offset
	v_ashrrev_i32_e32 v5, 31, v4
	s_mov_b32 s2, -1
	s_wait_loadcnt 0x0
	v_xor_b32_e32 v3, 0x80000000, v3
	s_and_b32 vcc_lo, exec_lo, s8
	s_cbranch_vccnz .LBB3_9
	s_branch .LBB3_10
.LBB3_5:
                                        ; implicit-def: $vgpr2_vgpr3
	s_cbranch_execnz .LBB3_13
	s_branch .LBB3_18
.LBB3_6:
                                        ; implicit-def: $vgpr2_vgpr3
	s_cbranch_execnz .LBB3_11
	s_branch .LBB3_12
.LBB3_7:
	s_mov_b32 s8, -1
.LBB3_8:
                                        ; implicit-def: $vgpr2_vgpr3
	s_delay_alu instid0(SALU_CYCLE_1)
	s_and_b32 vcc_lo, exec_lo, s8
	s_cbranch_vccz .LBB3_10
.LBB3_9:
	s_clause 0x1
	global_load_b128 v[0:3], v4, s[6:7] scale_offset
	global_load_b128 v[6:9], v4, s[4:5] scale_offset
	s_wait_loadcnt 0x1
	v_dual_mul_f64 v[10:11], v[2:3], v[2:3] :: v_dual_ashrrev_i32 v5, 31, v4
	s_wait_loadcnt 0x0
	v_mul_f64_e32 v[12:13], v[8:9], v[2:3]
	v_mul_f64_e32 v[2:3], v[6:7], v[2:3]
	s_delay_alu instid0(VALU_DEP_3) | instskip(NEXT) | instid1(VALU_DEP_3)
	v_fmac_f64_e32 v[10:11], v[0:1], v[0:1]
	v_fmac_f64_e32 v[12:13], v[6:7], v[0:1]
	s_delay_alu instid0(VALU_DEP_3) | instskip(NEXT) | instid1(VALU_DEP_2)
	v_fma_f64 v[2:3], v[8:9], v[0:1], -v[2:3]
	v_div_scale_f64 v[0:1], null, v[10:11], v[10:11], v[12:13]
	s_delay_alu instid0(VALU_DEP_2) | instskip(SKIP_1) | instid1(VALU_DEP_3)
	v_div_scale_f64 v[6:7], null, v[10:11], v[10:11], v[2:3]
	v_div_scale_f64 v[20:21], vcc_lo, v[12:13], v[10:11], v[12:13]
	v_rcp_f64_e32 v[8:9], v[0:1]
	s_delay_alu instid0(VALU_DEP_2) | instskip(NEXT) | instid1(TRANS32_DEP_2)
	v_rcp_f64_e32 v[14:15], v[6:7]
	v_fma_f64 v[16:17], -v[0:1], v[8:9], 1.0
	s_delay_alu instid0(TRANS32_DEP_1) | instskip(NEXT) | instid1(VALU_DEP_2)
	v_fma_f64 v[18:19], -v[6:7], v[14:15], 1.0
	v_fmac_f64_e32 v[8:9], v[8:9], v[16:17]
	s_delay_alu instid0(VALU_DEP_2) | instskip(NEXT) | instid1(VALU_DEP_2)
	v_fmac_f64_e32 v[14:15], v[14:15], v[18:19]
	v_fma_f64 v[16:17], -v[0:1], v[8:9], 1.0
	s_delay_alu instid0(VALU_DEP_2) | instskip(NEXT) | instid1(VALU_DEP_2)
	v_fma_f64 v[18:19], -v[6:7], v[14:15], 1.0
	v_fmac_f64_e32 v[8:9], v[8:9], v[16:17]
	v_div_scale_f64 v[16:17], s2, v[2:3], v[10:11], v[2:3]
	s_delay_alu instid0(VALU_DEP_3) | instskip(NEXT) | instid1(VALU_DEP_3)
	v_fmac_f64_e32 v[14:15], v[14:15], v[18:19]
	v_mul_f64_e32 v[18:19], v[20:21], v[8:9]
	s_delay_alu instid0(VALU_DEP_2) | instskip(NEXT) | instid1(VALU_DEP_2)
	v_mul_f64_e32 v[22:23], v[16:17], v[14:15]
	v_fma_f64 v[0:1], -v[0:1], v[18:19], v[20:21]
	s_delay_alu instid0(VALU_DEP_2) | instskip(NEXT) | instid1(VALU_DEP_2)
	v_fma_f64 v[6:7], -v[6:7], v[22:23], v[16:17]
	v_div_fmas_f64 v[0:1], v[0:1], v[8:9], v[18:19]
	s_mov_b32 vcc_lo, s2
	s_mov_b32 s2, -1
	s_delay_alu instid0(VALU_DEP_2) | instskip(NEXT) | instid1(VALU_DEP_2)
	v_div_fmas_f64 v[6:7], v[6:7], v[14:15], v[22:23]
	v_div_fixup_f64 v[0:1], v[0:1], v[10:11], v[12:13]
	s_delay_alu instid0(VALU_DEP_2)
	v_div_fixup_f64 v[2:3], v[6:7], v[10:11], v[2:3]
.LBB3_10:
	s_branch .LBB3_12
.LBB3_11:
	s_clause 0x1
	global_load_b128 v[6:9], v4, s[4:5] scale_offset
	global_load_b128 v[10:13], v4, s[6:7] scale_offset
	s_mov_b32 s2, -1
	v_ashrrev_i32_e32 v5, 31, v4
	s_wait_loadcnt 0x0
	v_mul_f64_e32 v[0:1], v[8:9], v[12:13]
	v_mul_f64_e32 v[2:3], v[6:7], v[12:13]
	s_delay_alu instid0(VALU_DEP_2) | instskip(NEXT) | instid1(VALU_DEP_2)
	v_fma_f64 v[0:1], v[6:7], v[10:11], -v[0:1]
	v_fmac_f64_e32 v[2:3], v[8:9], v[10:11]
.LBB3_12:
	s_branch .LBB3_18
.LBB3_13:
	s_cmp_gt_i32 s3, 0
	s_mov_b32 s8, 0
	s_cbranch_scc0 .LBB3_15
; %bb.14:
	s_clause 0x1
	global_load_b128 v[0:3], v4, s[4:5] scale_offset
	global_load_b128 v[6:9], v4, s[6:7] scale_offset
	s_mov_b32 s2, -1
	s_wait_loadcnt 0x0
	v_dual_add_f64 v[0:1], v[0:1], -v[6:7] :: v_dual_ashrrev_i32 v5, 31, v4
	v_add_f64_e64 v[2:3], v[2:3], -v[8:9]
	s_and_not1_b32 vcc_lo, exec_lo, s8
	s_cbranch_vccz .LBB3_16
	s_branch .LBB3_18
.LBB3_15:
                                        ; implicit-def: $vgpr2_vgpr3
.LBB3_16:
	s_cmp_eq_u32 s3, 0
	s_cbranch_scc1 .LBB3_21
; %bb.17:
                                        ; implicit-def: $vgpr2_vgpr3
                                        ; implicit-def: $vgpr4_vgpr5
.LBB3_18:
	s_and_b32 vcc_lo, exec_lo, s2
	s_cbranch_vccz .LBB3_20
.LBB3_19:
	s_load_b64 s[0:1], s[0:1], 0x10
	s_wait_kmcnt 0x0
	s_delay_alu instid0(VALU_DEP_1)
	v_lshl_add_u64 v[4:5], v[4:5], 4, s[0:1]
	global_store_b128 v[4:5], v[0:3], off
.LBB3_20:
	s_endpgm
.LBB3_21:
	s_clause 0x1
	global_load_b128 v[0:3], v4, s[4:5] scale_offset
	global_load_b128 v[6:9], v4, s[6:7] scale_offset
	s_wait_loadcnt 0x0
	v_dual_add_f64 v[0:1], v[0:1], v[6:7] :: v_dual_ashrrev_i32 v5, 31, v4
	v_add_f64_e32 v[2:3], v[2:3], v[8:9]
	s_cbranch_execnz .LBB3_19
	s_branch .LBB3_20
	.section	.rodata,"a",@progbits
	.p2align	6, 0x0
	.amdhsa_kernel _ZL20testComplexMathFunc1P15HIP_vector_typeIdLj2EES1_S1_15ComplexFuncType
		.amdhsa_group_segment_fixed_size 0
		.amdhsa_private_segment_fixed_size 0
		.amdhsa_kernarg_size 288
		.amdhsa_user_sgpr_count 2
		.amdhsa_user_sgpr_dispatch_ptr 0
		.amdhsa_user_sgpr_queue_ptr 0
		.amdhsa_user_sgpr_kernarg_segment_ptr 1
		.amdhsa_user_sgpr_dispatch_id 0
		.amdhsa_user_sgpr_kernarg_preload_length 0
		.amdhsa_user_sgpr_kernarg_preload_offset 0
		.amdhsa_user_sgpr_private_segment_size 0
		.amdhsa_wavefront_size32 1
		.amdhsa_uses_dynamic_stack 0
		.amdhsa_enable_private_segment 0
		.amdhsa_system_sgpr_workgroup_id_x 1
		.amdhsa_system_sgpr_workgroup_id_y 0
		.amdhsa_system_sgpr_workgroup_id_z 0
		.amdhsa_system_sgpr_workgroup_info 0
		.amdhsa_system_vgpr_workitem_id 0
		.amdhsa_next_free_vgpr 24
		.amdhsa_next_free_sgpr 11
		.amdhsa_named_barrier_count 0
		.amdhsa_reserve_vcc 1
		.amdhsa_float_round_mode_32 0
		.amdhsa_float_round_mode_16_64 0
		.amdhsa_float_denorm_mode_32 3
		.amdhsa_float_denorm_mode_16_64 3
		.amdhsa_fp16_overflow 0
		.amdhsa_memory_ordered 1
		.amdhsa_forward_progress 1
		.amdhsa_inst_pref_size 6
		.amdhsa_round_robin_scheduling 0
		.amdhsa_exception_fp_ieee_invalid_op 0
		.amdhsa_exception_fp_denorm_src 0
		.amdhsa_exception_fp_ieee_div_zero 0
		.amdhsa_exception_fp_ieee_overflow 0
		.amdhsa_exception_fp_ieee_underflow 0
		.amdhsa_exception_fp_ieee_inexact 0
		.amdhsa_exception_int_div_zero 0
	.end_amdhsa_kernel
	.section	.text._ZL20testComplexMathFunc1P15HIP_vector_typeIdLj2EES1_S1_15ComplexFuncType,"axG",@progbits,_ZL20testComplexMathFunc1P15HIP_vector_typeIdLj2EES1_S1_15ComplexFuncType,comdat
.Lfunc_end3:
	.size	_ZL20testComplexMathFunc1P15HIP_vector_typeIdLj2EES1_S1_15ComplexFuncType, .Lfunc_end3-_ZL20testComplexMathFunc1P15HIP_vector_typeIdLj2EES1_S1_15ComplexFuncType
                                        ; -- End function
	.set _ZL20testComplexMathFunc1P15HIP_vector_typeIdLj2EES1_S1_15ComplexFuncType.num_vgpr, 24
	.set _ZL20testComplexMathFunc1P15HIP_vector_typeIdLj2EES1_S1_15ComplexFuncType.num_agpr, 0
	.set _ZL20testComplexMathFunc1P15HIP_vector_typeIdLj2EES1_S1_15ComplexFuncType.numbered_sgpr, 11
	.set _ZL20testComplexMathFunc1P15HIP_vector_typeIdLj2EES1_S1_15ComplexFuncType.num_named_barrier, 0
	.set _ZL20testComplexMathFunc1P15HIP_vector_typeIdLj2EES1_S1_15ComplexFuncType.private_seg_size, 0
	.set _ZL20testComplexMathFunc1P15HIP_vector_typeIdLj2EES1_S1_15ComplexFuncType.uses_vcc, 1
	.set _ZL20testComplexMathFunc1P15HIP_vector_typeIdLj2EES1_S1_15ComplexFuncType.uses_flat_scratch, 0
	.set _ZL20testComplexMathFunc1P15HIP_vector_typeIdLj2EES1_S1_15ComplexFuncType.has_dyn_sized_stack, 0
	.set _ZL20testComplexMathFunc1P15HIP_vector_typeIdLj2EES1_S1_15ComplexFuncType.has_recursion, 0
	.set _ZL20testComplexMathFunc1P15HIP_vector_typeIdLj2EES1_S1_15ComplexFuncType.has_indirect_call, 0
	.section	.AMDGPU.csdata,"",@progbits
; Kernel info:
; codeLenInByte = 740
; TotalNumSgprs: 13
; NumVgprs: 24
; ScratchSize: 0
; MemoryBound: 1
; FloatMode: 240
; IeeeMode: 1
; LDSByteSize: 0 bytes/workgroup (compile time only)
; SGPRBlocks: 0
; VGPRBlocks: 1
; NumSGPRsForWavesPerEU: 13
; NumVGPRsForWavesPerEU: 24
; NamedBarCnt: 0
; Occupancy: 16
; WaveLimiterHint : 0
; COMPUTE_PGM_RSRC2:SCRATCH_EN: 0
; COMPUTE_PGM_RSRC2:USER_SGPR: 2
; COMPUTE_PGM_RSRC2:TRAP_HANDLER: 0
; COMPUTE_PGM_RSRC2:TGID_X_EN: 1
; COMPUTE_PGM_RSRC2:TGID_Y_EN: 0
; COMPUTE_PGM_RSRC2:TGID_Z_EN: 0
; COMPUTE_PGM_RSRC2:TIDIG_COMP_CNT: 0
	.section	.text._ZL20testComplexMathFunc2P15HIP_vector_typeIfLj2EEPf15ComplexFuncType,"axG",@progbits,_ZL20testComplexMathFunc2P15HIP_vector_typeIfLj2EEPf15ComplexFuncType,comdat
	.globl	_ZL20testComplexMathFunc2P15HIP_vector_typeIfLj2EEPf15ComplexFuncType ; -- Begin function _ZL20testComplexMathFunc2P15HIP_vector_typeIfLj2EEPf15ComplexFuncType
	.p2align	8
	.type	_ZL20testComplexMathFunc2P15HIP_vector_typeIfLj2EEPf15ComplexFuncType,@function
_ZL20testComplexMathFunc2P15HIP_vector_typeIfLj2EEPf15ComplexFuncType: ; @_ZL20testComplexMathFunc2P15HIP_vector_typeIfLj2EEPf15ComplexFuncType
; %bb.0:
	s_clause 0x2
	s_load_b32 s3, s[0:1], 0x24
	s_load_b128 s[4:7], s[0:1], 0x0
	s_load_b32 s2, s[0:1], 0x10
	s_wait_xcnt 0x0
	s_bfe_u32 s0, ttmp6, 0x4000c
	s_and_b32 s1, ttmp6, 15
	s_add_co_i32 s0, s0, 1
	s_getreg_b32 s8, hwreg(HW_REG_IB_STS2, 6, 4)
	s_mul_i32 s0, ttmp9, s0
	s_delay_alu instid0(SALU_CYCLE_1)
	s_add_co_i32 s1, s1, s0
	s_wait_kmcnt 0x0
	s_and_b32 s3, s3, 0xffff
	s_cmp_eq_u32 s8, 0
	s_cselect_b32 s0, ttmp9, s1
	s_cmp_lt_i32 s2, 7
	v_mad_u32 v0, s0, s3, v0
	s_mov_b32 s0, 0
	s_cbranch_scc1 .LBB4_5
; %bb.1:
	s_cmp_gt_i32 s2, 7
	s_cbranch_scc0 .LBB4_6
; %bb.2:
	s_cmp_eq_u32 s2, 8
	s_mov_b32 s1, 0
                                        ; implicit-def: $vgpr1
	s_cbranch_scc0 .LBB4_7
; %bb.3:
	global_load_b64 v[2:3], v0, s[4:5] scale_offset
	s_wait_loadcnt 0x0
	v_pk_mul_f32 v[2:3], v[2:3], v[2:3]
	s_delay_alu instid0(VALU_DEP_1) | instskip(NEXT) | instid1(VALU_DEP_1)
	v_add_f32_e32 v1, v2, v3
	v_mul_f32_e32 v2, 0x4f800000, v1
	v_cmp_gt_f32_e32 vcc_lo, 0xf800000, v1
	s_delay_alu instid0(VALU_DEP_2) | instskip(NEXT) | instid1(VALU_DEP_1)
	v_cndmask_b32_e32 v2, v1, v2, vcc_lo
	v_sqrt_f32_e32 v1, v2
	v_nop
	s_delay_alu instid0(TRANS32_DEP_1) | instskip(NEXT) | instid1(VALU_DEP_1)
	v_dual_add_nc_u32 v3, -1, v1 :: v_dual_add_nc_u32 v4, 1, v1
	v_dual_fma_f32 v5, -v3, v1, v2 :: v_dual_fma_f32 v6, -v4, v1, v2
	s_delay_alu instid0(VALU_DEP_1) | instskip(NEXT) | instid1(VALU_DEP_1)
	v_cmp_ge_f32_e64 s0, 0, v5
	v_cndmask_b32_e64 v1, v1, v3, s0
	s_delay_alu instid0(VALU_DEP_3) | instskip(NEXT) | instid1(VALU_DEP_1)
	v_cmp_lt_f32_e64 s0, 0, v6
	v_cndmask_b32_e64 v1, v1, v4, s0
	s_mov_b32 s0, -1
	s_delay_alu instid0(VALU_DEP_1) | instskip(NEXT) | instid1(VALU_DEP_1)
	v_mul_f32_e32 v3, 0x37800000, v1
	v_dual_cndmask_b32 v3, v1, v3, vcc_lo :: v_dual_ashrrev_i32 v1, 31, v0
	v_cmp_class_f32_e64 vcc_lo, v2, 0x260
	s_delay_alu instid0(VALU_DEP_2)
	v_cndmask_b32_e32 v2, v3, v2, vcc_lo
	s_and_b32 vcc_lo, exec_lo, s1
	s_cbranch_vccnz .LBB4_8
.LBB4_4:
	s_branch .LBB4_14
.LBB4_5:
                                        ; implicit-def: $vgpr2
	s_cbranch_execnz .LBB4_9
	s_branch .LBB4_14
.LBB4_6:
	s_mov_b32 s1, -1
.LBB4_7:
                                        ; implicit-def: $vgpr2
	s_delay_alu instid0(SALU_CYCLE_1)
	s_and_b32 vcc_lo, exec_lo, s1
	s_cbranch_vccz .LBB4_4
.LBB4_8:
	global_load_b64 v[2:3], v0, s[4:5] scale_offset
	s_mov_b32 s0, -1
	s_wait_loadcnt 0x0
	v_pk_mul_f32 v[2:3], v[2:3], v[2:3]
	s_delay_alu instid0(VALU_DEP_1)
	v_dual_add_f32 v2, v2, v3 :: v_dual_ashrrev_i32 v1, 31, v0
	s_branch .LBB4_14
.LBB4_9:
	s_cmp_gt_i32 s2, 5
	s_cbranch_scc0 .LBB4_11
; %bb.10:
	s_delay_alu instid0(VALU_DEP_1) | instskip(SKIP_1) | instid1(VALU_DEP_1)
	v_ashrrev_i32_e32 v1, 31, v0
	s_mov_b32 s0, -1
	v_lshl_add_u64 v[2:3], v[0:1], 3, s[4:5]
	global_load_b32 v2, v[2:3], off offset:4
	s_cbranch_execz .LBB4_12
	s_branch .LBB4_14
.LBB4_11:
                                        ; implicit-def: $vgpr2
.LBB4_12:
	s_cmp_eq_u32 s2, 5
	s_cbranch_scc0 .LBB4_17
; %bb.13:
	s_delay_alu instid0(VALU_DEP_1) | instskip(SKIP_2) | instid1(VALU_DEP_1)
	v_ashrrev_i32_e32 v1, 31, v0
	s_mov_b32 s0, -1
	s_wait_loadcnt 0x0
	v_lshl_add_u64 v[2:3], v[0:1], 3, s[4:5]
	global_load_b32 v2, v[2:3], off
.LBB4_14:
	s_and_b32 vcc_lo, exec_lo, s0
	s_cbranch_vccz .LBB4_16
.LBB4_15:
	s_delay_alu instid0(VALU_DEP_1)
	v_lshl_add_u64 v[0:1], v[0:1], 2, s[6:7]
	s_wait_loadcnt 0x0
	global_store_b32 v[0:1], v2, off
.LBB4_16:
	s_endpgm
.LBB4_17:
                                        ; implicit-def: $vgpr2
                                        ; implicit-def: $vgpr0_vgpr1
	s_and_b32 vcc_lo, exec_lo, s0
	s_cbranch_vccnz .LBB4_15
	s_branch .LBB4_16
	.section	.rodata,"a",@progbits
	.p2align	6, 0x0
	.amdhsa_kernel _ZL20testComplexMathFunc2P15HIP_vector_typeIfLj2EEPf15ComplexFuncType
		.amdhsa_group_segment_fixed_size 0
		.amdhsa_private_segment_fixed_size 0
		.amdhsa_kernarg_size 280
		.amdhsa_user_sgpr_count 2
		.amdhsa_user_sgpr_dispatch_ptr 0
		.amdhsa_user_sgpr_queue_ptr 0
		.amdhsa_user_sgpr_kernarg_segment_ptr 1
		.amdhsa_user_sgpr_dispatch_id 0
		.amdhsa_user_sgpr_kernarg_preload_length 0
		.amdhsa_user_sgpr_kernarg_preload_offset 0
		.amdhsa_user_sgpr_private_segment_size 0
		.amdhsa_wavefront_size32 1
		.amdhsa_uses_dynamic_stack 0
		.amdhsa_enable_private_segment 0
		.amdhsa_system_sgpr_workgroup_id_x 1
		.amdhsa_system_sgpr_workgroup_id_y 0
		.amdhsa_system_sgpr_workgroup_id_z 0
		.amdhsa_system_sgpr_workgroup_info 0
		.amdhsa_system_vgpr_workitem_id 0
		.amdhsa_next_free_vgpr 7
		.amdhsa_next_free_sgpr 9
		.amdhsa_named_barrier_count 0
		.amdhsa_reserve_vcc 1
		.amdhsa_float_round_mode_32 0
		.amdhsa_float_round_mode_16_64 0
		.amdhsa_float_denorm_mode_32 3
		.amdhsa_float_denorm_mode_16_64 3
		.amdhsa_fp16_overflow 0
		.amdhsa_memory_ordered 1
		.amdhsa_forward_progress 1
		.amdhsa_inst_pref_size 5
		.amdhsa_round_robin_scheduling 0
		.amdhsa_exception_fp_ieee_invalid_op 0
		.amdhsa_exception_fp_denorm_src 0
		.amdhsa_exception_fp_ieee_div_zero 0
		.amdhsa_exception_fp_ieee_overflow 0
		.amdhsa_exception_fp_ieee_underflow 0
		.amdhsa_exception_fp_ieee_inexact 0
		.amdhsa_exception_int_div_zero 0
	.end_amdhsa_kernel
	.section	.text._ZL20testComplexMathFunc2P15HIP_vector_typeIfLj2EEPf15ComplexFuncType,"axG",@progbits,_ZL20testComplexMathFunc2P15HIP_vector_typeIfLj2EEPf15ComplexFuncType,comdat
.Lfunc_end4:
	.size	_ZL20testComplexMathFunc2P15HIP_vector_typeIfLj2EEPf15ComplexFuncType, .Lfunc_end4-_ZL20testComplexMathFunc2P15HIP_vector_typeIfLj2EEPf15ComplexFuncType
                                        ; -- End function
	.set _ZL20testComplexMathFunc2P15HIP_vector_typeIfLj2EEPf15ComplexFuncType.num_vgpr, 7
	.set _ZL20testComplexMathFunc2P15HIP_vector_typeIfLj2EEPf15ComplexFuncType.num_agpr, 0
	.set _ZL20testComplexMathFunc2P15HIP_vector_typeIfLj2EEPf15ComplexFuncType.numbered_sgpr, 9
	.set _ZL20testComplexMathFunc2P15HIP_vector_typeIfLj2EEPf15ComplexFuncType.num_named_barrier, 0
	.set _ZL20testComplexMathFunc2P15HIP_vector_typeIfLj2EEPf15ComplexFuncType.private_seg_size, 0
	.set _ZL20testComplexMathFunc2P15HIP_vector_typeIfLj2EEPf15ComplexFuncType.uses_vcc, 1
	.set _ZL20testComplexMathFunc2P15HIP_vector_typeIfLj2EEPf15ComplexFuncType.uses_flat_scratch, 0
	.set _ZL20testComplexMathFunc2P15HIP_vector_typeIfLj2EEPf15ComplexFuncType.has_dyn_sized_stack, 0
	.set _ZL20testComplexMathFunc2P15HIP_vector_typeIfLj2EEPf15ComplexFuncType.has_recursion, 0
	.set _ZL20testComplexMathFunc2P15HIP_vector_typeIfLj2EEPf15ComplexFuncType.has_indirect_call, 0
	.section	.AMDGPU.csdata,"",@progbits
; Kernel info:
; codeLenInByte = 528
; TotalNumSgprs: 11
; NumVgprs: 7
; ScratchSize: 0
; MemoryBound: 0
; FloatMode: 240
; IeeeMode: 1
; LDSByteSize: 0 bytes/workgroup (compile time only)
; SGPRBlocks: 0
; VGPRBlocks: 0
; NumSGPRsForWavesPerEU: 11
; NumVGPRsForWavesPerEU: 7
; NamedBarCnt: 0
; Occupancy: 16
; WaveLimiterHint : 0
; COMPUTE_PGM_RSRC2:SCRATCH_EN: 0
; COMPUTE_PGM_RSRC2:USER_SGPR: 2
; COMPUTE_PGM_RSRC2:TRAP_HANDLER: 0
; COMPUTE_PGM_RSRC2:TGID_X_EN: 1
; COMPUTE_PGM_RSRC2:TGID_Y_EN: 0
; COMPUTE_PGM_RSRC2:TGID_Z_EN: 0
; COMPUTE_PGM_RSRC2:TIDIG_COMP_CNT: 0
	.section	.text._ZL20testComplexMathFunc2P15HIP_vector_typeIdLj2EEPd15ComplexFuncType,"axG",@progbits,_ZL20testComplexMathFunc2P15HIP_vector_typeIdLj2EEPd15ComplexFuncType,comdat
	.globl	_ZL20testComplexMathFunc2P15HIP_vector_typeIdLj2EEPd15ComplexFuncType ; -- Begin function _ZL20testComplexMathFunc2P15HIP_vector_typeIdLj2EEPd15ComplexFuncType
	.p2align	8
	.type	_ZL20testComplexMathFunc2P15HIP_vector_typeIdLj2EEPd15ComplexFuncType,@function
_ZL20testComplexMathFunc2P15HIP_vector_typeIdLj2EEPd15ComplexFuncType: ; @_ZL20testComplexMathFunc2P15HIP_vector_typeIdLj2EEPd15ComplexFuncType
; %bb.0:
	s_clause 0x2
	s_load_b32 s3, s[0:1], 0x24
	s_load_b128 s[4:7], s[0:1], 0x0
	s_load_b32 s2, s[0:1], 0x10
	s_wait_xcnt 0x0
	s_bfe_u32 s0, ttmp6, 0x4000c
	s_and_b32 s1, ttmp6, 15
	s_add_co_i32 s0, s0, 1
	s_getreg_b32 s8, hwreg(HW_REG_IB_STS2, 6, 4)
	s_mul_i32 s0, ttmp9, s0
	s_delay_alu instid0(SALU_CYCLE_1)
	s_add_co_i32 s1, s1, s0
	s_wait_kmcnt 0x0
	s_and_b32 s3, s3, 0xffff
	s_cmp_eq_u32 s8, 0
	s_cselect_b32 s0, ttmp9, s1
	s_cmp_lt_i32 s2, 7
	v_mad_u32 v0, s0, s3, v0
	s_mov_b32 s0, 0
	s_cbranch_scc1 .LBB5_5
; %bb.1:
	s_cmp_gt_i32 s2, 7
	s_cbranch_scc0 .LBB5_6
; %bb.2:
	s_cmp_eq_u32 s2, 8
	s_mov_b32 s1, 0
                                        ; implicit-def: $vgpr1
	s_cbranch_scc0 .LBB5_7
; %bb.3:
	global_load_b128 v[2:5], v0, s[4:5] scale_offset
	s_mov_b32 s0, -1
	s_wait_loadcnt 0x0
	v_mul_f64_e32 v[4:5], v[4:5], v[4:5]
	s_delay_alu instid0(VALU_DEP_1) | instskip(NEXT) | instid1(VALU_DEP_1)
	v_fmac_f64_e32 v[4:5], v[2:3], v[2:3]
	v_cmp_gt_f64_e32 vcc_lo, 0x10000000, v[4:5]
	v_cndmask_b32_e64 v1, 0, 0x100, vcc_lo
	s_delay_alu instid0(VALU_DEP_1) | instskip(SKIP_1) | instid1(VALU_DEP_2)
	v_ldexp_f64 v[2:3], v[4:5], v1
	v_cndmask_b32_e64 v1, 0, 0xffffff80, vcc_lo
	v_rsq_f64_e32 v[4:5], v[2:3]
	v_cmp_class_f64_e64 vcc_lo, v[2:3], 0x260
	s_delay_alu instid0(TRANS32_DEP_1) | instskip(SKIP_1) | instid1(VALU_DEP_1)
	v_mul_f64_e32 v[6:7], v[2:3], v[4:5]
	v_mul_f64_e32 v[4:5], 0.5, v[4:5]
	v_fma_f64 v[8:9], -v[4:5], v[6:7], 0.5
	s_delay_alu instid0(VALU_DEP_1) | instskip(SKIP_1) | instid1(VALU_DEP_2)
	v_fmac_f64_e32 v[6:7], v[6:7], v[8:9]
	v_fmac_f64_e32 v[4:5], v[4:5], v[8:9]
	v_fma_f64 v[8:9], -v[6:7], v[6:7], v[2:3]
	s_delay_alu instid0(VALU_DEP_1) | instskip(NEXT) | instid1(VALU_DEP_1)
	v_fmac_f64_e32 v[6:7], v[8:9], v[4:5]
	v_fma_f64 v[8:9], -v[6:7], v[6:7], v[2:3]
	s_delay_alu instid0(VALU_DEP_1) | instskip(NEXT) | instid1(VALU_DEP_1)
	v_fmac_f64_e32 v[6:7], v[8:9], v[4:5]
	v_ldexp_f64 v[4:5], v[6:7], v1
	s_delay_alu instid0(VALU_DEP_1) | instskip(NEXT) | instid1(VALU_DEP_2)
	v_dual_ashrrev_i32 v1, 31, v0 :: v_dual_cndmask_b32 v3, v5, v3, vcc_lo
	v_cndmask_b32_e32 v2, v4, v2, vcc_lo
	s_and_b32 vcc_lo, exec_lo, s1
	s_cbranch_vccnz .LBB5_8
.LBB5_4:
	s_branch .LBB5_14
.LBB5_5:
                                        ; implicit-def: $vgpr2_vgpr3
	s_cbranch_execnz .LBB5_9
	s_branch .LBB5_14
.LBB5_6:
	s_mov_b32 s1, -1
.LBB5_7:
                                        ; implicit-def: $vgpr2_vgpr3
	s_delay_alu instid0(SALU_CYCLE_1)
	s_and_b32 vcc_lo, exec_lo, s1
	s_cbranch_vccz .LBB5_4
.LBB5_8:
	global_load_b128 v[4:7], v0, s[4:5] scale_offset
	s_mov_b32 s0, -1
	s_wait_loadcnt 0x0
	v_dual_mul_f64 v[2:3], v[6:7], v[6:7] :: v_dual_ashrrev_i32 v1, 31, v0
	s_delay_alu instid0(VALU_DEP_1)
	v_fmac_f64_e32 v[2:3], v[4:5], v[4:5]
	s_branch .LBB5_14
.LBB5_9:
	s_cmp_gt_i32 s2, 5
	s_cbranch_scc0 .LBB5_11
; %bb.10:
	s_delay_alu instid0(VALU_DEP_1) | instskip(SKIP_1) | instid1(VALU_DEP_1)
	v_ashrrev_i32_e32 v1, 31, v0
	s_mov_b32 s0, -1
	v_lshl_add_u64 v[2:3], v[0:1], 4, s[4:5]
	global_load_b64 v[2:3], v[2:3], off offset:8
	s_cbranch_execz .LBB5_12
	s_branch .LBB5_14
.LBB5_11:
                                        ; implicit-def: $vgpr2_vgpr3
.LBB5_12:
	s_cmp_eq_u32 s2, 5
	s_cbranch_scc0 .LBB5_17
; %bb.13:
	s_delay_alu instid0(VALU_DEP_1) | instskip(SKIP_2) | instid1(VALU_DEP_1)
	v_ashrrev_i32_e32 v1, 31, v0
	s_mov_b32 s0, -1
	s_wait_loadcnt 0x0
	v_lshl_add_u64 v[2:3], v[0:1], 4, s[4:5]
	global_load_b64 v[2:3], v[2:3], off
.LBB5_14:
	s_and_b32 vcc_lo, exec_lo, s0
	s_cbranch_vccz .LBB5_16
.LBB5_15:
	s_delay_alu instid0(VALU_DEP_1)
	v_lshl_add_u64 v[0:1], v[0:1], 3, s[6:7]
	s_wait_loadcnt 0x0
	global_store_b64 v[0:1], v[2:3], off
.LBB5_16:
	s_endpgm
.LBB5_17:
                                        ; implicit-def: $vgpr2_vgpr3
                                        ; implicit-def: $vgpr0_vgpr1
	s_and_b32 vcc_lo, exec_lo, s0
	s_cbranch_vccnz .LBB5_15
	s_branch .LBB5_16
	.section	.rodata,"a",@progbits
	.p2align	6, 0x0
	.amdhsa_kernel _ZL20testComplexMathFunc2P15HIP_vector_typeIdLj2EEPd15ComplexFuncType
		.amdhsa_group_segment_fixed_size 0
		.amdhsa_private_segment_fixed_size 0
		.amdhsa_kernarg_size 280
		.amdhsa_user_sgpr_count 2
		.amdhsa_user_sgpr_dispatch_ptr 0
		.amdhsa_user_sgpr_queue_ptr 0
		.amdhsa_user_sgpr_kernarg_segment_ptr 1
		.amdhsa_user_sgpr_dispatch_id 0
		.amdhsa_user_sgpr_kernarg_preload_length 0
		.amdhsa_user_sgpr_kernarg_preload_offset 0
		.amdhsa_user_sgpr_private_segment_size 0
		.amdhsa_wavefront_size32 1
		.amdhsa_uses_dynamic_stack 0
		.amdhsa_enable_private_segment 0
		.amdhsa_system_sgpr_workgroup_id_x 1
		.amdhsa_system_sgpr_workgroup_id_y 0
		.amdhsa_system_sgpr_workgroup_id_z 0
		.amdhsa_system_sgpr_workgroup_info 0
		.amdhsa_system_vgpr_workitem_id 0
		.amdhsa_next_free_vgpr 10
		.amdhsa_next_free_sgpr 9
		.amdhsa_named_barrier_count 0
		.amdhsa_reserve_vcc 1
		.amdhsa_float_round_mode_32 0
		.amdhsa_float_round_mode_16_64 0
		.amdhsa_float_denorm_mode_32 3
		.amdhsa_float_denorm_mode_16_64 3
		.amdhsa_fp16_overflow 0
		.amdhsa_memory_ordered 1
		.amdhsa_forward_progress 1
		.amdhsa_inst_pref_size 5
		.amdhsa_round_robin_scheduling 0
		.amdhsa_exception_fp_ieee_invalid_op 0
		.amdhsa_exception_fp_denorm_src 0
		.amdhsa_exception_fp_ieee_div_zero 0
		.amdhsa_exception_fp_ieee_overflow 0
		.amdhsa_exception_fp_ieee_underflow 0
		.amdhsa_exception_fp_ieee_inexact 0
		.amdhsa_exception_int_div_zero 0
	.end_amdhsa_kernel
	.section	.text._ZL20testComplexMathFunc2P15HIP_vector_typeIdLj2EEPd15ComplexFuncType,"axG",@progbits,_ZL20testComplexMathFunc2P15HIP_vector_typeIdLj2EEPd15ComplexFuncType,comdat
.Lfunc_end5:
	.size	_ZL20testComplexMathFunc2P15HIP_vector_typeIdLj2EEPd15ComplexFuncType, .Lfunc_end5-_ZL20testComplexMathFunc2P15HIP_vector_typeIdLj2EEPd15ComplexFuncType
                                        ; -- End function
	.set _ZL20testComplexMathFunc2P15HIP_vector_typeIdLj2EEPd15ComplexFuncType.num_vgpr, 10
	.set _ZL20testComplexMathFunc2P15HIP_vector_typeIdLj2EEPd15ComplexFuncType.num_agpr, 0
	.set _ZL20testComplexMathFunc2P15HIP_vector_typeIdLj2EEPd15ComplexFuncType.numbered_sgpr, 9
	.set _ZL20testComplexMathFunc2P15HIP_vector_typeIdLj2EEPd15ComplexFuncType.num_named_barrier, 0
	.set _ZL20testComplexMathFunc2P15HIP_vector_typeIdLj2EEPd15ComplexFuncType.private_seg_size, 0
	.set _ZL20testComplexMathFunc2P15HIP_vector_typeIdLj2EEPd15ComplexFuncType.uses_vcc, 1
	.set _ZL20testComplexMathFunc2P15HIP_vector_typeIdLj2EEPd15ComplexFuncType.uses_flat_scratch, 0
	.set _ZL20testComplexMathFunc2P15HIP_vector_typeIdLj2EEPd15ComplexFuncType.has_dyn_sized_stack, 0
	.set _ZL20testComplexMathFunc2P15HIP_vector_typeIdLj2EEPd15ComplexFuncType.has_recursion, 0
	.set _ZL20testComplexMathFunc2P15HIP_vector_typeIdLj2EEPd15ComplexFuncType.has_indirect_call, 0
	.section	.AMDGPU.csdata,"",@progbits
; Kernel info:
; codeLenInByte = 532
; TotalNumSgprs: 11
; NumVgprs: 10
; ScratchSize: 0
; MemoryBound: 0
; FloatMode: 240
; IeeeMode: 1
; LDSByteSize: 0 bytes/workgroup (compile time only)
; SGPRBlocks: 0
; VGPRBlocks: 0
; NumSGPRsForWavesPerEU: 11
; NumVGPRsForWavesPerEU: 10
; NamedBarCnt: 0
; Occupancy: 16
; WaveLimiterHint : 0
; COMPUTE_PGM_RSRC2:SCRATCH_EN: 0
; COMPUTE_PGM_RSRC2:USER_SGPR: 2
; COMPUTE_PGM_RSRC2:TRAP_HANDLER: 0
; COMPUTE_PGM_RSRC2:TGID_X_EN: 1
; COMPUTE_PGM_RSRC2:TGID_Y_EN: 0
; COMPUTE_PGM_RSRC2:TGID_Z_EN: 0
; COMPUTE_PGM_RSRC2:TIDIG_COMP_CNT: 0
	.section	.AMDGPU.gpr_maximums,"",@progbits
	.set amdgpu.max_num_vgpr, 0
	.set amdgpu.max_num_agpr, 0
	.set amdgpu.max_num_sgpr, 0
	.section	.AMDGPU.csdata,"",@progbits
	.type	__hip_cuid_503e87d05454a138,@object ; @__hip_cuid_503e87d05454a138
	.section	.bss,"aw",@nobits
	.globl	__hip_cuid_503e87d05454a138
__hip_cuid_503e87d05454a138:
	.byte	0                               ; 0x0
	.size	__hip_cuid_503e87d05454a138, 1

	.ident	"AMD clang version 22.0.0git (https://github.com/RadeonOpenCompute/llvm-project roc-7.2.4 26084 f58b06dce1f9c15707c5f808fd002e18c2accf7e)"
	.section	".note.GNU-stack","",@progbits
	.addrsig
	.addrsig_sym __hip_cuid_503e87d05454a138
	.amdgpu_metadata
---
amdhsa.kernels:
  - .args:
      - .address_space:  global
        .offset:         0
        .size:           8
        .value_kind:     global_buffer
      - .address_space:  global
        .offset:         8
        .size:           8
        .value_kind:     global_buffer
      - .address_space:  global
        .offset:         16
        .size:           8
        .value_kind:     global_buffer
      - .offset:         24
        .size:           4
        .value_kind:     hidden_block_count_x
      - .offset:         28
        .size:           4
        .value_kind:     hidden_block_count_y
      - .offset:         32
        .size:           4
        .value_kind:     hidden_block_count_z
      - .offset:         36
        .size:           2
        .value_kind:     hidden_group_size_x
      - .offset:         38
        .size:           2
        .value_kind:     hidden_group_size_y
      - .offset:         40
        .size:           2
        .value_kind:     hidden_group_size_z
      - .offset:         42
        .size:           2
        .value_kind:     hidden_remainder_x
      - .offset:         44
        .size:           2
        .value_kind:     hidden_remainder_y
      - .offset:         46
        .size:           2
        .value_kind:     hidden_remainder_z
      - .offset:         64
        .size:           8
        .value_kind:     hidden_global_offset_x
      - .offset:         72
        .size:           8
        .value_kind:     hidden_global_offset_y
      - .offset:         80
        .size:           8
        .value_kind:     hidden_global_offset_z
      - .offset:         88
        .size:           2
        .value_kind:     hidden_grid_dims
    .group_segment_fixed_size: 0
    .kernarg_segment_align: 8
    .kernarg_segment_size: 280
    .language:       OpenCL C
    .language_version:
      - 2
      - 0
    .max_flat_workgroup_size: 1024
    .name:           _ZL19testMakeComplexFuncPfS_P15HIP_vector_typeIfLj2EE
    .private_segment_fixed_size: 0
    .sgpr_count:     10
    .sgpr_spill_count: 0
    .symbol:         _ZL19testMakeComplexFuncPfS_P15HIP_vector_typeIfLj2EE.kd
    .uniform_work_group_size: 1
    .uses_dynamic_stack: false
    .vgpr_count:     3
    .vgpr_spill_count: 0
    .wavefront_size: 32
  - .args:
      - .address_space:  global
        .offset:         0
        .size:           8
        .value_kind:     global_buffer
      - .address_space:  global
        .offset:         8
        .size:           8
        .value_kind:     global_buffer
      - .address_space:  global
        .offset:         16
        .size:           8
        .value_kind:     global_buffer
      - .offset:         24
        .size:           4
        .value_kind:     hidden_block_count_x
      - .offset:         28
        .size:           4
        .value_kind:     hidden_block_count_y
      - .offset:         32
        .size:           4
        .value_kind:     hidden_block_count_z
      - .offset:         36
        .size:           2
        .value_kind:     hidden_group_size_x
      - .offset:         38
        .size:           2
        .value_kind:     hidden_group_size_y
      - .offset:         40
        .size:           2
        .value_kind:     hidden_group_size_z
      - .offset:         42
        .size:           2
        .value_kind:     hidden_remainder_x
      - .offset:         44
        .size:           2
        .value_kind:     hidden_remainder_y
      - .offset:         46
        .size:           2
        .value_kind:     hidden_remainder_z
      - .offset:         64
        .size:           8
        .value_kind:     hidden_global_offset_x
      - .offset:         72
        .size:           8
        .value_kind:     hidden_global_offset_y
      - .offset:         80
        .size:           8
        .value_kind:     hidden_global_offset_z
      - .offset:         88
        .size:           2
        .value_kind:     hidden_grid_dims
    .group_segment_fixed_size: 0
    .kernarg_segment_align: 8
    .kernarg_segment_size: 280
    .language:       OpenCL C
    .language_version:
      - 2
      - 0
    .max_flat_workgroup_size: 1024
    .name:           _ZL19testMakeComplexFuncPdS_P15HIP_vector_typeIdLj2EE
    .private_segment_fixed_size: 0
    .sgpr_count:     10
    .sgpr_spill_count: 0
    .symbol:         _ZL19testMakeComplexFuncPdS_P15HIP_vector_typeIdLj2EE.kd
    .uniform_work_group_size: 1
    .uses_dynamic_stack: false
    .vgpr_count:     5
    .vgpr_spill_count: 0
    .wavefront_size: 32
  - .args:
      - .address_space:  global
        .offset:         0
        .size:           8
        .value_kind:     global_buffer
      - .address_space:  global
        .offset:         8
        .size:           8
        .value_kind:     global_buffer
      - .address_space:  global
        .offset:         16
        .size:           8
        .value_kind:     global_buffer
      - .offset:         24
        .size:           4
        .value_kind:     by_value
      - .offset:         32
        .size:           4
        .value_kind:     hidden_block_count_x
      - .offset:         36
        .size:           4
        .value_kind:     hidden_block_count_y
      - .offset:         40
        .size:           4
        .value_kind:     hidden_block_count_z
      - .offset:         44
        .size:           2
        .value_kind:     hidden_group_size_x
      - .offset:         46
        .size:           2
        .value_kind:     hidden_group_size_y
      - .offset:         48
        .size:           2
        .value_kind:     hidden_group_size_z
      - .offset:         50
        .size:           2
        .value_kind:     hidden_remainder_x
      - .offset:         52
        .size:           2
        .value_kind:     hidden_remainder_y
      - .offset:         54
        .size:           2
        .value_kind:     hidden_remainder_z
      - .offset:         72
        .size:           8
        .value_kind:     hidden_global_offset_x
      - .offset:         80
        .size:           8
        .value_kind:     hidden_global_offset_y
      - .offset:         88
        .size:           8
        .value_kind:     hidden_global_offset_z
      - .offset:         96
        .size:           2
        .value_kind:     hidden_grid_dims
    .group_segment_fixed_size: 0
    .kernarg_segment_align: 8
    .kernarg_segment_size: 288
    .language:       OpenCL C
    .language_version:
      - 2
      - 0
    .max_flat_workgroup_size: 1024
    .name:           _ZL20testComplexMathFunc1P15HIP_vector_typeIfLj2EES1_S1_15ComplexFuncType
    .private_segment_fixed_size: 0
    .sgpr_count:     13
    .sgpr_spill_count: 0
    .symbol:         _ZL20testComplexMathFunc1P15HIP_vector_typeIfLj2EES1_S1_15ComplexFuncType.kd
    .uniform_work_group_size: 1
    .uses_dynamic_stack: false
    .vgpr_count:     14
    .vgpr_spill_count: 0
    .wavefront_size: 32
  - .args:
      - .address_space:  global
        .offset:         0
        .size:           8
        .value_kind:     global_buffer
      - .address_space:  global
        .offset:         8
        .size:           8
        .value_kind:     global_buffer
      - .address_space:  global
        .offset:         16
        .size:           8
        .value_kind:     global_buffer
      - .offset:         24
        .size:           4
        .value_kind:     by_value
      - .offset:         32
        .size:           4
        .value_kind:     hidden_block_count_x
      - .offset:         36
        .size:           4
        .value_kind:     hidden_block_count_y
      - .offset:         40
        .size:           4
        .value_kind:     hidden_block_count_z
      - .offset:         44
        .size:           2
        .value_kind:     hidden_group_size_x
      - .offset:         46
        .size:           2
        .value_kind:     hidden_group_size_y
      - .offset:         48
        .size:           2
        .value_kind:     hidden_group_size_z
      - .offset:         50
        .size:           2
        .value_kind:     hidden_remainder_x
      - .offset:         52
        .size:           2
        .value_kind:     hidden_remainder_y
      - .offset:         54
        .size:           2
        .value_kind:     hidden_remainder_z
      - .offset:         72
        .size:           8
        .value_kind:     hidden_global_offset_x
      - .offset:         80
        .size:           8
        .value_kind:     hidden_global_offset_y
      - .offset:         88
        .size:           8
        .value_kind:     hidden_global_offset_z
      - .offset:         96
        .size:           2
        .value_kind:     hidden_grid_dims
    .group_segment_fixed_size: 0
    .kernarg_segment_align: 8
    .kernarg_segment_size: 288
    .language:       OpenCL C
    .language_version:
      - 2
      - 0
    .max_flat_workgroup_size: 1024
    .name:           _ZL20testComplexMathFunc1P15HIP_vector_typeIdLj2EES1_S1_15ComplexFuncType
    .private_segment_fixed_size: 0
    .sgpr_count:     13
    .sgpr_spill_count: 0
    .symbol:         _ZL20testComplexMathFunc1P15HIP_vector_typeIdLj2EES1_S1_15ComplexFuncType.kd
    .uniform_work_group_size: 1
    .uses_dynamic_stack: false
    .vgpr_count:     24
    .vgpr_spill_count: 0
    .wavefront_size: 32
  - .args:
      - .address_space:  global
        .offset:         0
        .size:           8
        .value_kind:     global_buffer
      - .address_space:  global
        .offset:         8
        .size:           8
        .value_kind:     global_buffer
      - .offset:         16
        .size:           4
        .value_kind:     by_value
      - .offset:         24
        .size:           4
        .value_kind:     hidden_block_count_x
      - .offset:         28
        .size:           4
        .value_kind:     hidden_block_count_y
      - .offset:         32
        .size:           4
        .value_kind:     hidden_block_count_z
      - .offset:         36
        .size:           2
        .value_kind:     hidden_group_size_x
      - .offset:         38
        .size:           2
        .value_kind:     hidden_group_size_y
      - .offset:         40
        .size:           2
        .value_kind:     hidden_group_size_z
      - .offset:         42
        .size:           2
        .value_kind:     hidden_remainder_x
      - .offset:         44
        .size:           2
        .value_kind:     hidden_remainder_y
      - .offset:         46
        .size:           2
        .value_kind:     hidden_remainder_z
      - .offset:         64
        .size:           8
        .value_kind:     hidden_global_offset_x
      - .offset:         72
        .size:           8
        .value_kind:     hidden_global_offset_y
      - .offset:         80
        .size:           8
        .value_kind:     hidden_global_offset_z
      - .offset:         88
        .size:           2
        .value_kind:     hidden_grid_dims
    .group_segment_fixed_size: 0
    .kernarg_segment_align: 8
    .kernarg_segment_size: 280
    .language:       OpenCL C
    .language_version:
      - 2
      - 0
    .max_flat_workgroup_size: 1024
    .name:           _ZL20testComplexMathFunc2P15HIP_vector_typeIfLj2EEPf15ComplexFuncType
    .private_segment_fixed_size: 0
    .sgpr_count:     11
    .sgpr_spill_count: 0
    .symbol:         _ZL20testComplexMathFunc2P15HIP_vector_typeIfLj2EEPf15ComplexFuncType.kd
    .uniform_work_group_size: 1
    .uses_dynamic_stack: false
    .vgpr_count:     7
    .vgpr_spill_count: 0
    .wavefront_size: 32
  - .args:
      - .address_space:  global
        .offset:         0
        .size:           8
        .value_kind:     global_buffer
      - .address_space:  global
        .offset:         8
        .size:           8
        .value_kind:     global_buffer
      - .offset:         16
        .size:           4
        .value_kind:     by_value
      - .offset:         24
        .size:           4
        .value_kind:     hidden_block_count_x
      - .offset:         28
        .size:           4
        .value_kind:     hidden_block_count_y
      - .offset:         32
        .size:           4
        .value_kind:     hidden_block_count_z
      - .offset:         36
        .size:           2
        .value_kind:     hidden_group_size_x
      - .offset:         38
        .size:           2
        .value_kind:     hidden_group_size_y
      - .offset:         40
        .size:           2
        .value_kind:     hidden_group_size_z
      - .offset:         42
        .size:           2
        .value_kind:     hidden_remainder_x
      - .offset:         44
        .size:           2
        .value_kind:     hidden_remainder_y
      - .offset:         46
        .size:           2
        .value_kind:     hidden_remainder_z
      - .offset:         64
        .size:           8
        .value_kind:     hidden_global_offset_x
      - .offset:         72
        .size:           8
        .value_kind:     hidden_global_offset_y
      - .offset:         80
        .size:           8
        .value_kind:     hidden_global_offset_z
      - .offset:         88
        .size:           2
        .value_kind:     hidden_grid_dims
    .group_segment_fixed_size: 0
    .kernarg_segment_align: 8
    .kernarg_segment_size: 280
    .language:       OpenCL C
    .language_version:
      - 2
      - 0
    .max_flat_workgroup_size: 1024
    .name:           _ZL20testComplexMathFunc2P15HIP_vector_typeIdLj2EEPd15ComplexFuncType
    .private_segment_fixed_size: 0
    .sgpr_count:     11
    .sgpr_spill_count: 0
    .symbol:         _ZL20testComplexMathFunc2P15HIP_vector_typeIdLj2EEPd15ComplexFuncType.kd
    .uniform_work_group_size: 1
    .uses_dynamic_stack: false
    .vgpr_count:     10
    .vgpr_spill_count: 0
    .wavefront_size: 32
amdhsa.target:   amdgcn-amd-amdhsa--gfx1250
amdhsa.version:
  - 1
  - 2
...

	.end_amdgpu_metadata
